;; amdgpu-corpus repo=ROCm/rocFFT kind=compiled arch=gfx906 opt=O3
	.text
	.amdgcn_target "amdgcn-amd-amdhsa--gfx906"
	.amdhsa_code_object_version 6
	.protected	fft_rtc_back_len80_factors_4_4_5_wgs_190_tpt_5_halfLds_dim2_sp_ip_CI_sbcc_twdbase8_3step_dirReg_intrinsicReadWrite ; -- Begin function fft_rtc_back_len80_factors_4_4_5_wgs_190_tpt_5_halfLds_dim2_sp_ip_CI_sbcc_twdbase8_3step_dirReg_intrinsicReadWrite
	.globl	fft_rtc_back_len80_factors_4_4_5_wgs_190_tpt_5_halfLds_dim2_sp_ip_CI_sbcc_twdbase8_3step_dirReg_intrinsicReadWrite
	.p2align	8
	.type	fft_rtc_back_len80_factors_4_4_5_wgs_190_tpt_5_halfLds_dim2_sp_ip_CI_sbcc_twdbase8_3step_dirReg_intrinsicReadWrite,@function
fft_rtc_back_len80_factors_4_4_5_wgs_190_tpt_5_halfLds_dim2_sp_ip_CI_sbcc_twdbase8_3step_dirReg_intrinsicReadWrite: ; @fft_rtc_back_len80_factors_4_4_5_wgs_190_tpt_5_halfLds_dim2_sp_ip_CI_sbcc_twdbase8_3step_dirReg_intrinsicReadWrite
; %bb.0:
	s_load_dwordx4 s[0:3], s[4:5], 0x10
	s_mov_b32 s7, 0
	s_waitcnt lgkmcnt(0)
	s_load_dwordx2 s[10:11], s[0:1], 0x8
	s_load_dwordx2 s[14:15], s[4:5], 0x0
	;; [unrolled: 1-line block ×4, first 2 shown]
	s_waitcnt lgkmcnt(0)
	s_add_u32 s0, s10, -1
	s_addc_u32 s1, s11, -1
	s_add_u32 s13, 0, 0x286b7a80
	s_addc_u32 s16, 0, 23
	s_add_i32 s16, s16, 0x6bca198
	s_mul_hi_u32 s20, s13, 0xffffffda
	s_sub_i32 s20, s20, s13
	s_mul_i32 s21, s16, 0xffffffda
	s_mul_i32 s17, s13, 0xffffffda
	s_add_i32 s20, s20, s21
	s_mul_hi_u32 s18, s16, s17
	s_mul_i32 s19, s16, s17
	s_mul_i32 s22, s13, s20
	s_mul_hi_u32 s17, s13, s17
	s_mul_hi_u32 s21, s13, s20
	s_add_u32 s17, s17, s22
	s_addc_u32 s21, 0, s21
	s_add_u32 s17, s17, s19
	s_mul_hi_u32 s22, s16, s20
	s_addc_u32 s17, s21, s18
	s_addc_u32 s18, s22, 0
	s_mul_i32 s19, s16, s20
	s_add_u32 s17, s17, s19
	v_mov_b32_e32 v1, s17
	s_addc_u32 s18, 0, s18
	v_add_co_u32_e32 v1, vcc, s13, v1
	s_cmp_lg_u64 vcc, 0
	s_addc_u32 s13, s16, s18
	v_readfirstlane_b32 s18, v1
	s_mul_i32 s17, s0, s13
	s_mul_hi_u32 s19, s0, s18
	s_mul_hi_u32 s16, s0, s13
	s_add_u32 s17, s19, s17
	s_addc_u32 s16, 0, s16
	s_mul_hi_u32 s20, s1, s18
	s_mul_i32 s18, s1, s18
	s_add_u32 s17, s17, s18
	s_mul_hi_u32 s19, s1, s13
	s_addc_u32 s16, s16, s20
	s_addc_u32 s17, s19, 0
	s_mul_i32 s13, s1, s13
	s_add_u32 s13, s16, s13
	s_addc_u32 s16, 0, s17
	s_add_u32 s17, s13, 1
	s_addc_u32 s18, s16, 0
	s_add_u32 s19, s13, 2
	s_mul_i32 s21, s16, 38
	s_mul_hi_u32 s22, s13, 38
	s_addc_u32 s20, s16, 0
	s_add_i32 s22, s22, s21
	s_mul_i32 s21, s13, 38
	v_mov_b32_e32 v1, s21
	v_sub_co_u32_e32 v1, vcc, s0, v1
	s_cmp_lg_u64 vcc, 0
	s_subb_u32 s0, s1, s22
	v_subrev_co_u32_e32 v2, vcc, 38, v1
	s_cmp_lg_u64 vcc, 0
	s_subb_u32 s1, s0, 0
	v_readfirstlane_b32 s21, v2
	s_cmp_gt_u32 s21, 37
	s_cselect_b32 s21, -1, 0
	s_cmp_eq_u32 s1, 0
	s_cselect_b32 s1, s21, -1
	s_cmp_lg_u32 s1, 0
	s_cselect_b32 s1, s19, s17
	s_cselect_b32 s17, s20, s18
	v_readfirstlane_b32 s18, v1
	s_cmp_gt_u32 s18, 37
	s_cselect_b32 s18, -1, 0
	s_cmp_eq_u32 s0, 0
	s_cselect_b32 s0, s18, -1
	s_cmp_lg_u32 s0, 0
	s_cselect_b32 s0, s1, s13
	s_cselect_b32 s16, s17, s16
	s_add_u32 s0, s0, 1
	s_addc_u32 s1, s16, 0
	v_mov_b32_e32 v2, s1
	v_mov_b32_e32 v1, s0
	v_cmp_lt_u64_e32 vcc, s[6:7], v[1:2]
	s_mov_b64 s[16:17], 0
	s_cbranch_vccnz .LBB0_2
; %bb.1:
	v_cvt_f32_u32_e32 v1, s0
	s_sub_i32 s7, 0, s0
	v_rcp_iflag_f32_e32 v1, v1
	v_mul_f32_e32 v1, 0x4f7ffffe, v1
	v_cvt_u32_f32_e32 v1, v1
	v_readfirstlane_b32 s13, v1
	s_mul_i32 s7, s7, s13
	s_mul_hi_u32 s7, s13, s7
	s_add_i32 s13, s13, s7
	s_mul_hi_u32 s7, s6, s13
	s_mul_i32 s16, s7, s0
	s_sub_i32 s16, s6, s16
	s_add_i32 s13, s7, 1
	s_sub_i32 s17, s16, s0
	s_cmp_ge_u32 s16, s0
	s_cselect_b32 s7, s13, s7
	s_cselect_b32 s16, s17, s16
	s_add_i32 s13, s7, 1
	s_cmp_ge_u32 s16, s0
	s_cselect_b32 s16, s13, s7
.LBB0_2:
	s_mul_i32 s1, s16, s1
	s_mul_hi_u32 s7, s16, s0
	s_add_i32 s7, s7, s1
	s_mul_i32 s0, s16, s0
	s_sub_u32 s6, s6, s0
	s_load_dwordx4 s[0:3], s[2:3], 0x8
	v_mul_u32_u24_e32 v31, 0x6bd, v0
	s_subb_u32 s7, 0, s7
	v_lshrrev_b32_e32 v32, 16, v31
	s_mul_i32 s7, s7, 38
	s_waitcnt lgkmcnt(0)
	s_mul_hi_u32 s1, s6, 38
	s_mul_i32 s3, s6, 38
	v_mul_lo_u16_e32 v1, 38, v32
	s_add_i32 s1, s1, s7
	s_mul_i32 s6, s3, s0
	s_mul_i32 s2, s2, s16
	v_sub_u16_e32 v24, v0, v1
	s_add_i32 s6, s2, s6
	v_mov_b32_e32 v1, s1
	v_add_co_u32_e32 v19, vcc, s3, v24
	v_addc_co_u32_e32 v20, vcc, 0, v1, vcc
	s_add_u32 s2, s3, 38
	v_mov_b32_e32 v1, s10
	s_addc_u32 s3, s1, 0
	v_mov_b32_e32 v2, s11
	v_mad_u64_u32 v[17:18], s[0:1], s0, v24, 0
	v_mul_lo_u32 v3, s12, v32
	v_cmp_le_u64_e32 vcc, s[2:3], v[1:2]
	v_add_u32_e32 v2, 20, v32
	v_mul_lo_u32 v2, s12, v2
	v_cmp_gt_u64_e64 s[0:1], s[10:11], v[19:20]
	v_add_lshl_u32 v1, v17, v3, 3
	s_or_b64 s[2:3], vcc, s[0:1]
	v_cndmask_b32_e64 v9, -1, v1, s[2:3]
	v_add_lshl_u32 v1, v17, v2, 3
	v_or_b32_e32 v2, 40, v32
	v_mul_lo_u32 v2, s12, v2
	v_add_u32_e32 v3, 60, v32
	v_mul_lo_u32 v3, s12, v3
	v_cndmask_b32_e64 v10, -1, v1, s[2:3]
	v_add_lshl_u32 v1, v17, v2, 3
	v_cndmask_b32_e64 v11, -1, v1, s[2:3]
	v_add_lshl_u32 v1, v17, v3, 3
	v_add_u32_e32 v2, 45, v32
	v_add_u32_e32 v3, 0x41, v32
	v_cndmask_b32_e64 v12, -1, v1, s[2:3]
	v_add_u32_e32 v1, 25, v32
	v_mul_lo_u32 v14, s12, v2
	v_mul_lo_u32 v15, s12, v3
	;; [unrolled: 1-line block ×3, first 2 shown]
	s_lshl_b32 s13, s6, 3
	s_mov_b32 s11, 0x20000
	s_mov_b32 s10, -2
	buffer_load_dwordx2 v[1:2], v9, s[8:11], s13 offen
	buffer_load_dwordx2 v[3:4], v10, s[8:11], s13 offen
	;; [unrolled: 1-line block ×4, first 2 shown]
	v_add_lshl_u32 v10, v17, v14, 3
	v_add_lshl_u32 v11, v17, v15, 3
	;; [unrolled: 1-line block ×3, first 2 shown]
	v_cndmask_b32_e64 v13, -1, v10, s[2:3]
	v_cndmask_b32_e64 v14, -1, v11, s[2:3]
	v_add_u32_e32 v37, 5, v32
	v_cndmask_b32_e64 v20, -1, v9, s[2:3]
	v_mul_lo_u32 v18, s12, v37
	buffer_load_dwordx2 v[9:10], v14, s[8:11], s13 offen
	buffer_load_dwordx2 v[11:12], v13, s[8:11], s13 offen
	v_add_u32_e32 v13, 30, v32
	v_mul_lo_u32 v21, s12, v13
	v_add_lshl_u32 v13, v17, v18, 3
	v_cndmask_b32_e64 v22, -1, v13, s[2:3]
	buffer_load_dwordx2 v[13:14], v20, s[8:11], s13 offen
	buffer_load_dwordx2 v[15:16], v22, s[8:11], s13 offen
	v_add_lshl_u32 v20, v17, v21, 3
	v_add_u32_e32 v21, 50, v32
	v_mul_lo_u32 v21, s12, v21
	v_add_u32_e32 v22, 0x46, v32
	v_mul_lo_u32 v22, s12, v22
	;; [unrolled: 2-line block ×3, first 2 shown]
	v_cndmask_b32_e64 v23, -1, v20, s[2:3]
	v_add_lshl_u32 v20, v17, v21, 3
	v_cndmask_b32_e64 v27, -1, v20, s[2:3]
	v_add_lshl_u32 v20, v17, v22, 3
	v_cndmask_b32_e64 v22, -1, v20, s[2:3]
	buffer_load_dwordx2 v[20:21], v22, s[8:11], s13 offen
	buffer_load_dwordx2 v[25:26], v27, s[8:11], s13 offen
	v_add_u32_e32 v22, 35, v32
	v_add_lshl_u32 v27, v17, v28, 3
	v_mul_lo_u32 v22, s12, v22
	v_cndmask_b32_e64 v33, -1, v27, s[2:3]
	buffer_load_dwordx2 v[27:28], v23, s[8:11], s13 offen
	buffer_load_dwordx2 v[29:30], v33, s[8:11], s13 offen
	v_add_u32_e32 v23, 55, v32
	v_mul_lo_u32 v23, s12, v23
	v_add_u32_e32 v33, 0x4b, v32
	v_mul_lo_u32 v33, s12, v33
	v_add_lshl_u32 v22, v17, v22, 3
	v_cndmask_b32_e64 v38, -1, v22, s[2:3]
	v_add_lshl_u32 v22, v17, v23, 3
	v_cndmask_b32_e64 v39, -1, v22, s[2:3]
	v_add_lshl_u32 v22, v17, v33, 3
	v_add_u32_e32 v33, 15, v32
	v_mul_lo_u32 v40, s12, v33
	v_cndmask_b32_e64 v41, -1, v22, s[2:3]
	buffer_load_dwordx2 v[22:23], v41, s[8:11], s13 offen
	buffer_load_dwordx2 v[35:36], v39, s[8:11], s13 offen
	v_mul_u32_u24_e32 v42, 0x260, v32
	v_add_lshl_u32 v40, v17, v40, 3
	v_cndmask_b32_e64 v40, -1, v40, s[2:3]
	buffer_load_dwordx2 v[38:39], v38, s[8:11], s13 offen
	v_lshlrev_b32_e32 v71, 2, v24
	buffer_load_dwordx2 v[40:41], v40, s[8:11], s13 offen
	v_add3_u32 v54, 0, v42, v71
	s_movk_i32 s6, 0xfe38
	s_movk_i32 s7, 0xbe0
	v_mad_i32_i24 v44, v32, s6, v54
	v_add_u32_e32 v56, 0x1700, v44
	v_add_u32_e32 v55, 0x1100, v44
	;; [unrolled: 1-line block ×4, first 2 shown]
	v_and_b32_e32 v74, 3, v33
	v_add_u32_e32 v79, 0x900, v44
	v_add_u32_e32 v80, 0xf40, v44
	;; [unrolled: 1-line block ×6, first 2 shown]
	s_waitcnt vmcnt(13)
	v_sub_f32_e32 v5, v1, v5
	s_waitcnt vmcnt(12)
	v_sub_f32_e32 v7, v3, v7
	v_sub_f32_e32 v8, v4, v8
	v_fma_f32 v3, v3, 2.0, -v7
	v_fma_f32 v1, v1, 2.0, -v5
	;; [unrolled: 1-line block ×3, first 2 shown]
	v_add_f32_e32 v8, v5, v8
	v_sub_f32_e32 v3, v1, v3
	v_fma_f32 v5, v5, 2.0, -v8
	v_fma_f32 v1, v1, 2.0, -v3
	ds_write2_b32 v54, v1, v5 offset1:38
	ds_write2_b32 v54, v3, v8 offset0:76 offset1:114
	v_sub_f32_e32 v6, v2, v6
	v_fma_f32 v2, v2, 2.0, -v6
	s_waitcnt vmcnt(9)
	v_sub_f32_e32 v1, v13, v9
	s_waitcnt vmcnt(8)
	v_sub_f32_e32 v5, v15, v11
	v_sub_f32_e32 v3, v14, v10
	v_fma_f32 v8, v15, 2.0, -v5
	v_fma_f32 v9, v13, 2.0, -v1
	v_mul_u32_u24_e32 v11, 0x98, v37
	v_sub_f32_e32 v9, v8, v9
	v_add_f32_e32 v10, v5, v3
	v_lshlrev_b32_e32 v11, 2, v11
	v_fma_f32 v5, v5, 2.0, -v10
	v_fma_f32 v8, v8, 2.0, -v9
	v_add3_u32 v11, 0, v11, v71
	ds_write2_b32 v11, v8, v5 offset1:38
	ds_write2_b32 v11, v9, v10 offset0:76 offset1:114
	v_sub_f32_e32 v4, v2, v4
	v_sub_f32_e32 v7, v6, v7
	v_fma_f32 v2, v2, 2.0, -v4
	v_fma_f32 v6, v6, 2.0, -v7
	v_mad_i32_i24 v45, v37, s6, v11
	s_waitcnt vmcnt(5)
	v_sub_f32_e32 v5, v27, v20
	s_waitcnt vmcnt(4)
	v_sub_f32_e32 v9, v29, v25
	v_sub_f32_e32 v8, v28, v21
	v_fma_f32 v10, v29, 2.0, -v9
	v_fma_f32 v13, v27, 2.0, -v5
	v_sub_f32_e32 v13, v10, v13
	v_add_f32_e32 v15, v9, v8
	v_fma_f32 v10, v10, 2.0, -v13
	v_fma_f32 v9, v9, 2.0, -v15
	v_add_u32_e32 v25, 0xa00, v11
	ds_write2_b32 v25, v10, v9 offset0:120 offset1:158
	v_add_u32_e32 v9, 0xc00, v11
	ds_write2_b32 v9, v13, v15 offset0:68 offset1:106
	v_add_u32_e32 v27, 0x1600, v11
	s_movk_i32 s6, 0x70
	s_waitcnt vmcnt(1)
	v_sub_f32_e32 v10, v38, v22
	v_sub_f32_e32 v13, v39, v23
	s_waitcnt vmcnt(0)
	v_sub_f32_e32 v15, v40, v35
	v_fma_f32 v20, v40, 2.0, -v15
	v_fma_f32 v21, v38, 2.0, -v10
	v_sub_f32_e32 v21, v20, v21
	v_add_f32_e32 v22, v15, v13
	v_fma_f32 v20, v20, 2.0, -v21
	v_fma_f32 v15, v15, 2.0, -v22
	ds_write2_b32 v27, v20, v15 offset0:112 offset1:150
	v_mul_i32_i24_e32 v20, 0xfffffe38, v34
	v_add_u32_e32 v15, 0x1800, v11
	v_add3_u32 v43, v11, s7, v20
	s_movk_i32 s7, 0x17c0
	v_mul_i32_i24_e32 v20, 0xfffffe38, v33
	ds_write2_b32 v15, v21, v22 offset0:60 offset1:98
	s_waitcnt lgkmcnt(0)
	s_barrier
	v_add3_u32 v42, v11, s7, v20
	v_add_u32_e32 v40, 0xb00, v44
	v_add_u32_e32 v38, 0x2300, v44
	ds_read_b32 v59, v44
	ds_read_b32 v64, v45
	;; [unrolled: 1-line block ×4, first 2 shown]
	ds_read2_b32 v[46:47], v40 offset0:56 offset1:246
	ds_read2_b32 v[22:23], v56 offset0:48 offset1:238
	;; [unrolled: 1-line block ×6, first 2 shown]
	s_waitcnt lgkmcnt(0)
	s_barrier
	ds_write2_b32 v54, v2, v6 offset1:38
	ds_write2_b32 v54, v4, v7 offset0:76 offset1:114
	v_fma_f32 v2, v14, 2.0, -v3
	v_sub_f32_e32 v3, v16, v12
	v_fma_f32 v4, v16, 2.0, -v3
	v_sub_f32_e32 v2, v4, v2
	v_sub_f32_e32 v1, v3, v1
	v_fma_f32 v4, v4, 2.0, -v2
	v_fma_f32 v3, v3, 2.0, -v1
	ds_write2_b32 v11, v4, v3 offset1:38
	ds_write2_b32 v11, v2, v1 offset0:76 offset1:114
	v_sub_f32_e32 v2, v30, v26
	v_fma_f32 v1, v28, 2.0, -v8
	v_fma_f32 v3, v30, 2.0, -v2
	v_sub_f32_e32 v1, v3, v1
	v_sub_f32_e32 v4, v2, v5
	v_fma_f32 v3, v3, 2.0, -v1
	v_fma_f32 v2, v2, 2.0, -v4
	ds_write2_b32 v25, v3, v2 offset0:120 offset1:158
	ds_write2_b32 v9, v1, v4 offset0:68 offset1:106
	v_sub_f32_e32 v2, v41, v36
	v_fma_f32 v1, v39, 2.0, -v13
	v_fma_f32 v3, v41, 2.0, -v2
	v_sub_f32_e32 v1, v3, v1
	v_sub_f32_e32 v4, v2, v10
	v_fma_f32 v3, v3, 2.0, -v1
	v_fma_f32 v2, v2, 2.0, -v4
	ds_write2_b32 v27, v3, v2 offset0:112 offset1:150
	ds_write2_b32 v15, v1, v4 offset0:60 offset1:98
	v_bfe_u32 v1, v31, 16, 2
	v_mul_u32_u24_e32 v1, 3, v1
	v_lshlrev_b32_e32 v31, 3, v1
	s_waitcnt lgkmcnt(0)
	s_barrier
	global_load_dwordx2 v[25:26], v31, s[14:15] offset:16
	v_and_b32_e32 v1, 3, v37
	v_mul_u32_u24_e32 v1, 3, v1
	v_and_b32_e32 v41, 3, v34
	v_lshlrev_b32_e32 v39, 3, v1
	global_load_dwordx2 v[27:28], v39, s[14:15] offset:16
	v_mul_u32_u24_e32 v1, 3, v41
	v_lshlrev_b32_e32 v54, 3, v1
	global_load_dwordx2 v[29:30], v54, s[14:15] offset:16
	v_mul_u32_u24_e32 v1, 3, v74
	v_lshlrev_b32_e32 v60, 3, v1
	global_load_dwordx2 v[35:36], v60, s[14:15] offset:16
	global_load_dwordx4 v[1:4], v31, s[14:15]
	global_load_dwordx4 v[5:8], v39, s[14:15]
	;; [unrolled: 1-line block ×4, first 2 shown]
	ds_read2_b32 v[38:39], v38 offset0:40 offset1:230
	s_waitcnt vmcnt(7) lgkmcnt(0)
	v_mul_f32_e32 v31, v38, v26
	v_mul_f32_e32 v26, v48, v26
	v_fmac_f32_e32 v31, v48, v25
	v_fma_f32 v38, v38, v25, -v26
	ds_read2_b32 v[25:26], v58 offset0:36 offset1:226
	s_waitcnt vmcnt(6)
	v_mul_f32_e32 v48, v39, v28
	v_mul_f32_e32 v28, v49, v28
	v_fmac_f32_e32 v48, v49, v27
	v_fma_f32 v39, v39, v27, -v28
	s_waitcnt vmcnt(5)
	v_mul_f32_e32 v27, v52, v30
	s_waitcnt lgkmcnt(0)
	v_fma_f32 v69, v25, v29, -v27
	ds_read2_b32 v[27:28], v40 offset0:56 offset1:246
	v_mul_f32_e32 v49, v25, v30
	s_waitcnt vmcnt(4)
	v_mul_f32_e32 v40, v26, v36
	v_mul_f32_e32 v25, v53, v36
	v_fmac_f32_e32 v40, v53, v35
	v_fma_f32 v76, v26, v35, -v25
	s_waitcnt vmcnt(2) lgkmcnt(0)
	v_mul_f32_e32 v35, v28, v6
	v_mul_f32_e32 v6, v47, v6
	v_fmac_f32_e32 v49, v52, v29
	ds_read2_b32 v[25:26], v55 offset0:52 offset1:242
	v_fma_f32 v53, v28, v5, -v6
	ds_read2_b32 v[28:29], v56 offset0:48 offset1:238
	v_mul_f32_e32 v30, v27, v2
	v_fmac_f32_e32 v35, v47, v5
	v_mul_f32_e32 v2, v46, v2
	s_waitcnt vmcnt(1)
	v_mul_f32_e32 v5, v50, v10
	v_fma_f32 v55, v27, v1, -v2
	s_waitcnt vmcnt(0) lgkmcnt(1)
	v_mul_f32_e32 v2, v26, v14
	v_fma_f32 v54, v25, v9, -v5
	s_waitcnt lgkmcnt(0)
	v_mul_f32_e32 v5, v28, v4
	v_fmac_f32_e32 v30, v46, v1
	v_fmac_f32_e32 v2, v51, v13
	v_mul_f32_e32 v6, v51, v14
	v_fmac_f32_e32 v5, v22, v3
	v_lshlrev_b32_e32 v51, 2, v32
	v_mul_f32_e32 v1, v25, v10
	v_fma_f32 v52, v26, v13, -v6
	v_sub_f32_e32 v5, v59, v5
	v_sub_f32_e32 v58, v30, v31
	v_or_b32_e32 v13, v51, v32
	v_fmac_f32_e32 v1, v50, v9
	v_fma_f32 v6, v59, 2.0, -v5
	v_sub_f32_e32 v59, v55, v38
	v_fma_f32 v9, v30, 2.0, -v58
	v_and_b32_e32 v13, 19, v13
	v_sub_f32_e32 v9, v6, v9
	v_add_f32_e32 v10, v5, v59
	v_mul_u32_u24_e32 v13, 0x98, v13
	v_fma_f32 v6, v6, 2.0, -v9
	v_fma_f32 v5, v5, 2.0, -v10
	v_add3_u32 v62, 0, v13, v71
	ds_read2_b32 v[30:31], v57 offset0:44 offset1:234
	ds_read_b32 v61, v44
	ds_read_b32 v60, v45
	;; [unrolled: 1-line block ×4, first 2 shown]
	s_waitcnt lgkmcnt(0)
	s_barrier
	ds_write2_b32 v62, v6, v5 offset1:152
	v_mul_f32_e32 v5, v29, v8
	v_fmac_f32_e32 v5, v23, v7
	v_lshlrev_b32_e32 v50, 2, v37
	v_add_u32_e32 v63, 0x400, v62
	v_sub_f32_e32 v5, v64, v5
	v_sub_f32_e32 v66, v35, v48
	v_or_b32_e32 v13, v50, v37
	ds_write2_b32 v63, v9, v10 offset0:48 offset1:200
	v_fma_f32 v6, v64, 2.0, -v5
	v_sub_f32_e32 v67, v53, v39
	v_fma_f32 v9, v35, 2.0, -v66
	v_and_b32_e32 v13, 0xf3, v13
	v_sub_f32_e32 v9, v6, v9
	v_add_f32_e32 v10, v5, v67
	v_mul_u32_u24_e32 v13, 0x98, v13
	v_fma_f32 v6, v6, 2.0, -v9
	v_fma_f32 v5, v5, 2.0, -v10
	v_add3_u32 v64, 0, v13, v71
	ds_write2_b32 v64, v6, v5 offset1:152
	v_add_u32_e32 v65, 0x400, v64
	v_mul_f32_e32 v5, v30, v12
	v_lshlrev_b32_e32 v36, 2, v34
	ds_write2_b32 v65, v9, v10 offset0:48 offset1:200
	v_fmac_f32_e32 v5, v20, v11
	v_and_or_b32 v10, v36, s6, v41
	v_sub_f32_e32 v5, v68, v5
	v_sub_f32_e32 v70, v1, v49
	v_mul_u32_u24_e32 v10, 0x98, v10
	v_fma_f32 v6, v68, 2.0, -v5
	v_sub_f32_e32 v72, v54, v69
	v_fma_f32 v1, v1, 2.0, -v70
	v_add3_u32 v68, 0, v10, v71
	v_sub_f32_e32 v1, v6, v1
	v_add_f32_e32 v9, v5, v72
	v_add_u32_e32 v69, 0x400, v68
	v_lshlrev_b32_e32 v35, 2, v33
	v_fma_f32 v6, v6, 2.0, -v1
	ds_write2_b32 v69, v1, v9 offset0:48 offset1:200
	v_and_or_b32 v1, v35, s6, v74
	v_mul_u32_u24_e32 v1, 0x98, v1
	v_add3_u32 v71, 0, v1, v71
	v_mul_f32_e32 v1, v31, v16
	v_fmac_f32_e32 v1, v21, v15
	v_fma_f32 v5, v5, 2.0, -v9
	v_sub_f32_e32 v1, v73, v1
	v_sub_f32_e32 v75, v2, v40
	ds_write2_b32 v68, v6, v5 offset1:152
	v_fma_f32 v5, v73, 2.0, -v1
	v_sub_f32_e32 v76, v52, v76
	v_fma_f32 v2, v2, 2.0, -v75
	v_sub_f32_e32 v2, v5, v2
	v_add_f32_e32 v38, v1, v76
	v_fma_f32 v5, v5, 2.0, -v2
	v_fma_f32 v1, v1, 2.0, -v38
	v_add_u32_e32 v74, 0x400, v71
	ds_write2_b32 v71, v5, v1 offset1:152
	ds_write2_b32 v74, v2, v38 offset0:48 offset1:200
	s_waitcnt lgkmcnt(0)
	s_barrier
	v_lshl_add_u32 v73, v24, 2, 0
	ds_read_b32 v41, v44
	ds_read_b32 v40, v45
	;; [unrolled: 1-line block ×3, first 2 shown]
                                        ; implicit-def: $vgpr46
                                        ; implicit-def: $vgpr47
                                        ; implicit-def: $vgpr48
                                        ; implicit-def: $vgpr49
	ds_read2_b32 v[26:27], v79 offset0:32 offset1:222
	ds_read2_b32 v[24:25], v80 offset0:12 offset1:240
	;; [unrolled: 1-line block ×6, first 2 shown]
	v_cmp_gt_u32_e64 s[6:7], 38, v0
	s_and_saveexec_b64 s[10:11], s[6:7]
	s_cbranch_execz .LBB0_4
; %bb.3:
	ds_read_b32 v38, v42
	ds_read_b32 v49, v73 offset:4712
	ds_read_b32 v48, v73 offset:7144
	ds_read_b32 v47, v73 offset:9576
	ds_read_b32 v46, v73 offset:12008
.LBB0_4:
	s_or_b64 exec, exec, s[10:11]
	v_mul_f32_e32 v4, v22, v4
	v_fma_f32 v3, v28, v3, -v4
	v_mul_f32_e32 v4, v23, v8
	v_mul_f32_e32 v8, v21, v16
	v_fma_f32 v4, v29, v7, -v4
	v_mul_f32_e32 v7, v20, v12
	v_fma_f32 v8, v31, v15, -v8
	v_fma_f32 v7, v30, v11, -v7
	v_sub_f32_e32 v8, v56, v8
	v_sub_f32_e32 v3, v61, v3
	;; [unrolled: 1-line block ×4, first 2 shown]
	v_fma_f32 v28, v56, 2.0, -v8
	v_fma_f32 v30, v52, 2.0, -v76
	;; [unrolled: 1-line block ×8, first 2 shown]
	v_sub_f32_e32 v30, v28, v30
	v_sub_f32_e32 v12, v11, v12
	;; [unrolled: 1-line block ×7, first 2 shown]
	v_fma_f32 v31, v28, 2.0, -v30
	v_sub_f32_e32 v28, v8, v75
	v_fma_f32 v11, v11, 2.0, -v12
	v_fma_f32 v3, v3, 2.0, -v15
	;; [unrolled: 1-line block ×7, first 2 shown]
	s_waitcnt lgkmcnt(0)
	s_barrier
	ds_write2_b32 v62, v11, v3 offset1:152
	ds_write2_b32 v63, v12, v15 offset0:48 offset1:200
	ds_write2_b32 v64, v16, v4 offset1:152
	ds_write2_b32 v65, v20, v21 offset0:48 offset1:200
	;; [unrolled: 2-line block ×4, first 2 shown]
	s_waitcnt lgkmcnt(0)
	s_barrier
	ds_read2_b32 v[22:23], v79 offset0:32 offset1:222
	ds_read2_b32 v[20:21], v80 offset0:12 offset1:240
	;; [unrolled: 1-line block ×6, first 2 shown]
	ds_read_b32 v31, v44
	ds_read_b32 v30, v45
	;; [unrolled: 1-line block ×3, first 2 shown]
                                        ; implicit-def: $vgpr43
                                        ; implicit-def: $vgpr44
                                        ; implicit-def: $vgpr45
                                        ; implicit-def: $vgpr52
	s_and_saveexec_b64 s[10:11], s[6:7]
	s_cbranch_execz .LBB0_6
; %bb.5:
	ds_read_b32 v28, v42
	ds_read_b32 v52, v73 offset:4712
	ds_read_b32 v45, v73 offset:7144
	ds_read_b32 v44, v73 offset:9576
	ds_read_b32 v43, v73 offset:12008
.LBB0_6:
	s_or_b64 exec, exec, s[10:11]
	v_and_b32_e32 v42, 28, v51
	v_lshlrev_b32_e32 v42, 3, v42
	v_and_b32_e32 v50, 60, v50
	global_load_dwordx4 v[53:56], v42, s[14:15] offset:96
	v_lshlrev_b32_e32 v50, 3, v50
	global_load_dwordx4 v[57:60], v50, s[14:15] offset:96
	v_and_b32_e32 v51, 60, v36
	v_lshlrev_b32_e32 v51, 3, v51
	global_load_dwordx4 v[61:64], v51, s[14:15] offset:96
	global_load_dwordx4 v[65:68], v42, s[14:15] offset:112
	v_and_b32_e32 v42, 60, v35
	global_load_dwordx4 v[69:72], v50, s[14:15] offset:112
	v_lshlrev_b32_e32 v42, 3, v42
	s_load_dwordx2 s[4:5], s[4:5], 0x8
	s_mov_b32 s11, 0x20000
	s_mov_b32 s10, -2
	s_waitcnt vmcnt(4) lgkmcnt(0)
	v_mul_f32_e32 v50, v22, v54
	v_mul_f32_e32 v54, v26, v54
	;; [unrolled: 1-line block ×4, first 2 shown]
	v_fmac_f32_e32 v50, v26, v53
	v_fma_f32 v74, v22, v53, -v54
	v_fmac_f32_e32 v73, v25, v55
	v_fma_f32 v21, v21, v55, -v56
	global_load_dwordx4 v[53:56], v51, s[14:15] offset:112
	s_waitcnt vmcnt(4)
	v_mul_f32_e32 v51, v23, v58
	v_mul_f32_e32 v22, v27, v58
	;; [unrolled: 1-line block ×4, first 2 shown]
	v_fmac_f32_e32 v51, v27, v57
	v_fma_f32 v27, v23, v57, -v22
	v_fmac_f32_e32 v75, v13, v59
	v_fma_f32 v15, v15, v59, -v25
	global_load_dwordx4 v[57:60], v42, s[14:15] offset:96
	s_waitcnt vmcnt(4)
	v_mul_f32_e32 v76, v20, v62
	v_mul_f32_e32 v13, v24, v62
	v_fmac_f32_e32 v76, v24, v61
	global_load_dwordx4 v[22:25], v42, s[14:15] offset:112
	v_fma_f32 v77, v20, v61, -v13
	s_waitcnt vmcnt(4)
	v_mul_f32_e32 v13, v11, v66
	v_mul_f32_e32 v78, v16, v64
	;; [unrolled: 1-line block ×3, first 2 shown]
	v_fmac_f32_e32 v78, v14, v63
	v_mul_f32_e32 v14, v14, v64
	v_mul_f32_e32 v26, v2, v68
	s_waitcnt vmcnt(3)
	v_mul_f32_e32 v42, v12, v70
	v_fmac_f32_e32 v13, v9, v65
	v_fma_f32 v9, v11, v65, -v20
	v_fma_f32 v16, v16, v63, -v14
	v_mul_f32_e32 v14, v4, v68
	v_mul_f32_e32 v61, v10, v70
	;; [unrolled: 1-line block ×3, first 2 shown]
	v_fma_f32 v20, v4, v67, -v26
	v_fmac_f32_e32 v42, v10, v69
	v_mul_f32_e32 v63, v5, v72
	v_fmac_f32_e32 v14, v2, v67
	v_fmac_f32_e32 v62, v5, v71
	s_waitcnt vmcnt(2)
	v_mul_f32_e32 v65, v8, v56
	v_mul_f32_e32 v26, v6, v56
	v_fmac_f32_e32 v65, v6, v55
	v_add_f32_e32 v6, v73, v13
	v_mul_f32_e32 v64, v3, v54
	v_mul_f32_e32 v11, v1, v54
	v_fma_f32 v54, v12, v69, -v61
	v_fma_f32 v56, v7, v71, -v63
	v_fmac_f32_e32 v64, v1, v53
	s_waitcnt vmcnt(1)
	v_mul_f32_e32 v10, v49, v58
	v_mul_f32_e32 v2, v52, v58
	;; [unrolled: 1-line block ×3, first 2 shown]
	v_fma_f32 v1, v3, v53, -v11
	s_waitcnt vmcnt(0)
	v_mul_f32_e32 v5, v44, v23
	v_mul_f32_e32 v58, v47, v23
	v_fma_f32 v23, v52, v57, -v10
	v_fma_f32 v10, -0.5, v6, v41
	v_mul_f32_e32 v7, v43, v25
	v_mul_f32_e32 v25, v46, v25
	v_sub_f32_e32 v11, v74, v20
	v_mov_b32_e32 v6, v10
	v_fma_f32 v63, v8, v55, -v26
	v_fma_f32 v26, v45, v59, -v12
	v_fmac_f32_e32 v7, v46, v24
	v_fma_f32 v24, v43, v24, -v25
	v_fmac_f32_e32 v6, 0xbf737871, v11
	v_sub_f32_e32 v12, v21, v9
	v_sub_f32_e32 v8, v50, v73
	;; [unrolled: 1-line block ×3, first 2 shown]
	v_fmac_f32_e32 v10, 0x3f737871, v11
	v_fmac_f32_e32 v6, 0xbf167918, v12
	v_add_f32_e32 v8, v8, v25
	v_fmac_f32_e32 v10, 0x3f167918, v12
	v_fmac_f32_e32 v6, 0x3e9e377a, v8
	;; [unrolled: 1-line block ×3, first 2 shown]
	v_add_f32_e32 v8, v50, v14
	v_add_f32_e32 v3, v41, v50
	v_fmac_f32_e32 v41, -0.5, v8
	v_mov_b32_e32 v8, v41
	v_fmac_f32_e32 v8, 0x3f737871, v12
	v_fmac_f32_e32 v41, 0xbf737871, v12
	;; [unrolled: 1-line block ×4, first 2 shown]
	v_add_f32_e32 v11, v31, v74
	v_add_f32_e32 v11, v11, v21
	;; [unrolled: 1-line block ×3, first 2 shown]
	v_fmac_f32_e32 v2, v49, v57
	v_add_f32_e32 v49, v11, v20
	v_add_f32_e32 v11, v21, v9
	;; [unrolled: 1-line block ×3, first 2 shown]
	v_sub_f32_e32 v25, v73, v50
	v_sub_f32_e32 v43, v13, v14
	v_fma_f32 v11, -0.5, v11, v31
	v_add_f32_e32 v3, v3, v13
	v_add_f32_e32 v25, v25, v43
	v_sub_f32_e32 v12, v50, v14
	v_mov_b32_e32 v79, v11
	v_add_f32_e32 v3, v3, v14
	v_fmac_f32_e32 v8, 0x3e9e377a, v25
	v_fmac_f32_e32 v41, 0x3e9e377a, v25
	;; [unrolled: 1-line block ×3, first 2 shown]
	v_sub_f32_e32 v13, v73, v13
	v_sub_f32_e32 v14, v74, v21
	;; [unrolled: 1-line block ×3, first 2 shown]
	v_fmac_f32_e32 v11, 0xbf737871, v12
	v_fmac_f32_e32 v79, 0x3f167918, v13
	v_add_f32_e32 v14, v14, v25
	v_fmac_f32_e32 v11, 0xbf167918, v13
	v_fmac_f32_e32 v79, 0x3e9e377a, v14
	;; [unrolled: 1-line block ×3, first 2 shown]
	v_add_f32_e32 v14, v74, v20
	v_fmac_f32_e32 v31, -0.5, v14
	v_mov_b32_e32 v80, v31
	v_fmac_f32_e32 v80, 0xbf737871, v13
	v_sub_f32_e32 v14, v21, v74
	v_sub_f32_e32 v9, v9, v20
	v_fmac_f32_e32 v31, 0x3f737871, v13
	v_fmac_f32_e32 v80, 0x3f167918, v12
	v_add_f32_e32 v9, v14, v9
	v_fmac_f32_e32 v31, 0xbf167918, v12
	v_fmac_f32_e32 v80, 0x3e9e377a, v9
	;; [unrolled: 1-line block ×3, first 2 shown]
	v_add_f32_e32 v9, v40, v51
	v_add_f32_e32 v9, v9, v75
	;; [unrolled: 1-line block ×5, first 2 shown]
	v_fma_f32 v21, -0.5, v9, v40
	v_fmac_f32_e32 v5, v47, v22
	v_fma_f32 v22, v44, v22, -v58
	v_sub_f32_e32 v9, v27, v56
	v_mov_b32_e32 v44, v21
	v_fmac_f32_e32 v44, 0xbf737871, v9
	v_sub_f32_e32 v13, v15, v54
	v_sub_f32_e32 v14, v51, v75
	;; [unrolled: 1-line block ×3, first 2 shown]
	v_fmac_f32_e32 v21, 0x3f737871, v9
	v_fmac_f32_e32 v44, 0xbf167918, v13
	v_add_f32_e32 v14, v14, v20
	v_fmac_f32_e32 v21, 0x3f167918, v13
	v_fmac_f32_e32 v44, 0x3e9e377a, v14
	;; [unrolled: 1-line block ×3, first 2 shown]
	v_add_f32_e32 v14, v51, v62
	v_fmac_f32_e32 v40, -0.5, v14
	v_mul_f32_e32 v4, v45, v60
	v_mov_b32_e32 v45, v40
	v_fmac_f32_e32 v45, 0x3f737871, v13
	v_fmac_f32_e32 v40, 0xbf737871, v13
	;; [unrolled: 1-line block ×4, first 2 shown]
	v_add_f32_e32 v9, v30, v27
	v_add_f32_e32 v9, v9, v15
	v_add_f32_e32 v9, v9, v54
	v_sub_f32_e32 v14, v75, v51
	v_sub_f32_e32 v20, v42, v62
	v_add_f32_e32 v13, v9, v56
	v_add_f32_e32 v9, v15, v54
	;; [unrolled: 1-line block ×3, first 2 shown]
	v_fma_f32 v25, -0.5, v9, v30
	v_fmac_f32_e32 v45, 0x3e9e377a, v14
	v_fmac_f32_e32 v40, 0x3e9e377a, v14
	v_sub_f32_e32 v9, v51, v62
	v_mov_b32_e32 v14, v25
	v_fmac_f32_e32 v14, 0x3f737871, v9
	v_sub_f32_e32 v20, v75, v42
	v_sub_f32_e32 v42, v27, v15
	;; [unrolled: 1-line block ×3, first 2 shown]
	v_fmac_f32_e32 v25, 0xbf737871, v9
	v_fmac_f32_e32 v14, 0x3f167918, v20
	v_add_f32_e32 v42, v42, v43
	v_fmac_f32_e32 v25, 0xbf167918, v20
	v_fmac_f32_e32 v14, 0x3e9e377a, v42
	;; [unrolled: 1-line block ×3, first 2 shown]
	v_add_f32_e32 v42, v27, v56
	v_fmac_f32_e32 v30, -0.5, v42
	v_mov_b32_e32 v51, v30
	v_fmac_f32_e32 v51, 0xbf737871, v20
	v_fmac_f32_e32 v30, 0x3f737871, v20
	v_mul_lo_u32 v20, v19, v32
	v_sub_f32_e32 v15, v15, v27
	v_sub_f32_e32 v27, v54, v56
	v_fmac_f32_e32 v51, 0x3f167918, v9
	v_add_f32_e32 v15, v15, v27
	v_fmac_f32_e32 v30, 0xbf167918, v9
	v_fmac_f32_e32 v51, 0x3e9e377a, v15
	;; [unrolled: 1-line block ×3, first 2 shown]
	v_mov_b32_e32 v15, 3
	v_lshlrev_b32_sdwa v27, v15, v20 dst_sel:DWORD dst_unused:UNUSED_PAD src0_sel:DWORD src1_sel:BYTE_0
	v_fmac_f32_e32 v4, v48, v59
	v_lshlrev_b32_sdwa v42, v15, v20 dst_sel:DWORD dst_unused:UNUSED_PAD src0_sel:DWORD src1_sel:BYTE_1
	global_load_dwordx2 v[57:58], v27, s[4:5]
	global_load_dwordx2 v[59:60], v42, s[4:5] offset:2048
	v_bfe_u32 v46, v20, 16, 8
	v_mov_b32_e32 v20, 0x1000
	v_lshl_or_b32 v46, v46, 3, v20
	global_load_dwordx2 v[61:62], v46, s[4:5]
	v_add_f32_e32 v9, v39, v76
	v_add_f32_e32 v9, v9, v78
	;; [unrolled: 1-line block ×5, first 2 shown]
	v_fma_f32 v42, -0.5, v9, v39
	v_sub_f32_e32 v9, v77, v63
	v_mov_b32_e32 v48, v42
	v_fmac_f32_e32 v48, 0xbf737871, v9
	v_sub_f32_e32 v27, v16, v1
	v_sub_f32_e32 v43, v76, v78
	v_sub_f32_e32 v46, v65, v64
	v_fmac_f32_e32 v42, 0x3f737871, v9
	v_fmac_f32_e32 v48, 0xbf167918, v27
	v_add_f32_e32 v43, v43, v46
	v_fmac_f32_e32 v42, 0x3f167918, v27
	v_fmac_f32_e32 v48, 0x3e9e377a, v43
	;; [unrolled: 1-line block ×3, first 2 shown]
	v_add_f32_e32 v43, v76, v65
	v_fmac_f32_e32 v39, -0.5, v43
	v_mov_b32_e32 v50, v39
	v_fmac_f32_e32 v50, 0x3f737871, v27
	v_sub_f32_e32 v43, v78, v76
	v_sub_f32_e32 v46, v64, v65
	v_fmac_f32_e32 v39, 0xbf737871, v27
	v_fmac_f32_e32 v50, 0xbf167918, v9
	v_add_f32_e32 v43, v43, v46
	v_fmac_f32_e32 v39, 0x3f167918, v9
	v_add_f32_e32 v9, v29, v77
	v_fmac_f32_e32 v50, 0x3e9e377a, v43
	v_fmac_f32_e32 v39, 0x3e9e377a, v43
	v_add_f32_e32 v9, v9, v16
	v_sub_f32_e32 v43, v77, v16
	v_sub_f32_e32 v46, v63, v1
	v_add_f32_e32 v9, v9, v1
	v_add_f32_e32 v43, v43, v46
	v_sub_f32_e32 v46, v2, v4
	v_sub_f32_e32 v52, v7, v5
	v_add_f32_e32 v56, v9, v63
	v_add_f32_e32 v9, v16, v1
	;; [unrolled: 1-line block ×3, first 2 shown]
	v_or_b32_e32 v52, 16, v32
	v_fma_f32 v47, -0.5, v9, v29
	v_mul_lo_u32 v52, v19, v52
	v_sub_f32_e32 v9, v76, v65
	v_mov_b32_e32 v55, v47
	v_fmac_f32_e32 v55, 0x3f737871, v9
	v_sub_f32_e32 v27, v78, v64
	v_fmac_f32_e32 v47, 0xbf737871, v9
	v_fmac_f32_e32 v55, 0x3f167918, v27
	;; [unrolled: 1-line block ×5, first 2 shown]
	v_add_f32_e32 v43, v77, v63
	v_sub_f32_e32 v1, v1, v63
	v_lshlrev_b32_sdwa v63, v15, v52 dst_sel:DWORD dst_unused:UNUSED_PAD src0_sel:DWORD src1_sel:BYTE_0
	v_or_b32_e32 v69, 32, v32
	global_load_dwordx2 v[63:64], v63, s[4:5]
	v_fmac_f32_e32 v29, -0.5, v43
	v_mov_b32_e32 v53, v29
	v_fmac_f32_e32 v53, 0xbf737871, v27
	v_fmac_f32_e32 v29, 0x3f737871, v27
	v_fmac_f32_e32 v53, 0x3f167918, v9
	v_sub_f32_e32 v16, v16, v77
	v_fmac_f32_e32 v29, 0xbf167918, v9
	v_add_f32_e32 v9, v4, v5
	v_or_b32_e32 v74, 48, v32
	v_add_f32_e32 v1, v16, v1
	v_fma_f32 v16, -0.5, v9, v38
	v_sub_f32_e32 v9, v23, v24
	v_mov_b32_e32 v27, v16
	v_fmac_f32_e32 v27, 0xbf737871, v9
	v_sub_f32_e32 v43, v26, v22
	v_fmac_f32_e32 v16, 0x3f737871, v9
	v_fmac_f32_e32 v27, 0xbf167918, v43
	s_waitcnt vmcnt(2)
	v_mul_f32_e32 v65, v58, v60
	v_fma_f32 v71, v57, v59, -v65
	v_lshlrev_b32_sdwa v65, v15, v52 dst_sel:DWORD dst_unused:UNUSED_PAD src0_sel:DWORD src1_sel:BYTE_1
	global_load_dwordx2 v[65:66], v65, s[4:5] offset:2048
	v_bfe_u32 v52, v52, 16, 8
	v_lshl_or_b32 v52, v52, 3, v20
	global_load_dwordx2 v[67:68], v52, s[4:5]
	v_mul_lo_u32 v52, v19, v69
	v_mul_f32_e32 v72, v57, v60
	v_fmac_f32_e32 v72, v58, v59
	v_fmac_f32_e32 v16, 0x3f167918, v43
	v_lshlrev_b32_sdwa v69, v15, v52 dst_sel:DWORD dst_unused:UNUSED_PAD src0_sel:DWORD src1_sel:BYTE_0
	v_lshlrev_b32_sdwa v70, v15, v52 dst_sel:DWORD dst_unused:UNUSED_PAD src0_sel:DWORD src1_sel:BYTE_1
	global_load_dwordx2 v[57:58], v69, s[4:5]
	global_load_dwordx2 v[59:60], v70, s[4:5] offset:2048
	v_bfe_u32 v52, v52, 16, 8
	v_lshl_or_b32 v52, v52, 3, v20
	global_load_dwordx2 v[69:70], v52, s[4:5]
	v_mul_lo_u32 v52, v19, v74
	s_waitcnt vmcnt(6)
	v_mul_f32_e32 v73, v72, v62
	v_fmac_f32_e32 v27, 0x3e9e377a, v46
	v_fmac_f32_e32 v16, 0x3e9e377a, v46
	v_add_f32_e32 v46, v2, v7
	v_fma_f32 v75, v61, v71, -v73
	v_mul_f32_e32 v76, v71, v62
	v_lshlrev_b32_sdwa v73, v15, v52 dst_sel:DWORD dst_unused:UNUSED_PAD src0_sel:DWORD src1_sel:BYTE_0
	v_fmac_f32_e32 v53, 0x3e9e377a, v1
	v_fmac_f32_e32 v29, 0x3e9e377a, v1
	v_add_f32_e32 v1, v38, v2
	v_fmac_f32_e32 v76, v61, v72
	v_lshlrev_b32_sdwa v74, v15, v52 dst_sel:DWORD dst_unused:UNUSED_PAD src0_sel:DWORD src1_sel:BYTE_1
	global_load_dwordx2 v[61:62], v73, s[4:5]
	global_load_dwordx2 v[71:72], v74, s[4:5] offset:2048
	v_fmac_f32_e32 v38, -0.5, v46
	v_sub_f32_e32 v46, v4, v2
	v_sub_f32_e32 v73, v5, v7
	v_add_f32_e32 v77, v46, v73
	v_mov_b32_e32 v46, v38
	v_fmac_f32_e32 v46, 0x3f737871, v43
	v_fmac_f32_e32 v38, 0xbf737871, v43
	v_bfe_u32 v43, v52, 16, 8
	v_lshl_or_b32 v43, v43, 3, v20
	global_load_dwordx2 v[73:74], v43, s[4:5]
	v_add_f32_e32 v1, v1, v4
	v_add_f32_e32 v1, v1, v5
	;; [unrolled: 1-line block ×4, first 2 shown]
	v_fma_f32 v43, -0.5, v1, v28
	v_mul_f32_e32 v1, v49, v76
	v_sub_f32_e32 v78, v2, v7
	v_fmac_f32_e32 v1, v3, v75
	v_mul_f32_e32 v2, v3, v76
	v_sub_f32_e32 v81, v4, v5
	v_fmac_f32_e32 v46, 0xbf167918, v9
	v_fmac_f32_e32 v38, 0x3f167918, v9
	v_fma_f32 v2, v49, v75, -v2
	v_fmac_f32_e32 v46, 0x3e9e377a, v77
	v_fmac_f32_e32 v38, 0x3e9e377a, v77
	v_add_f32_e32 v77, v28, v23
	s_waitcnt vmcnt(7)
	v_mul_f32_e32 v3, v64, v66
	v_fma_f32 v3, v63, v65, -v3
	v_mul_f32_e32 v4, v63, v66
	v_fmac_f32_e32 v4, v64, v65
	s_waitcnt vmcnt(6)
	v_mul_f32_e32 v7, v3, v68
	v_mul_f32_e32 v5, v4, v68
	v_fmac_f32_e32 v7, v67, v4
	v_fma_f32 v5, v67, v3, -v5
	v_mul_f32_e32 v3, v79, v7
	v_mul_f32_e32 v4, v6, v7
	v_fmac_f32_e32 v3, v6, v5
	v_fma_f32 v4, v79, v5, -v4
	s_waitcnt vmcnt(4)
	v_mul_f32_e32 v5, v58, v60
	v_fma_f32 v5, v57, v59, -v5
	v_mul_f32_e32 v6, v57, v60
	v_fmac_f32_e32 v6, v58, v59
	s_waitcnt vmcnt(3)
	v_mul_f32_e32 v9, v5, v70
	v_mul_f32_e32 v7, v6, v70
	v_fmac_f32_e32 v9, v69, v6
	v_fma_f32 v7, v69, v5, -v7
	v_mul_f32_e32 v5, v80, v9
	v_fmac_f32_e32 v5, v8, v7
	v_mul_f32_e32 v6, v8, v9
	v_or_b32_e32 v8, 64, v32
	v_mul_lo_u32 v8, v19, v8
	v_fma_f32 v6, v80, v7, -v6
	s_waitcnt vmcnt(1)
	v_mul_f32_e32 v7, v62, v72
	v_lshlrev_b32_sdwa v49, v15, v8 dst_sel:DWORD dst_unused:UNUSED_PAD src0_sel:DWORD src1_sel:BYTE_0
	v_lshlrev_b32_sdwa v57, v15, v8 dst_sel:DWORD dst_unused:UNUSED_PAD src0_sel:DWORD src1_sel:BYTE_1
	v_bfe_u32 v8, v8, 16, 8
	v_mul_f32_e32 v9, v61, v72
	v_lshl_or_b32 v8, v8, 3, v20
	v_fma_f32 v7, v61, v71, -v7
	v_fmac_f32_e32 v9, v62, v71
	global_load_dwordx2 v[58:59], v49, s[4:5]
	global_load_dwordx2 v[60:61], v57, s[4:5] offset:2048
	global_load_dwordx2 v[62:63], v8, s[4:5]
	v_mul_lo_u32 v8, v19, v37
	s_waitcnt vmcnt(3)
	v_mul_f32_e32 v49, v9, v74
	v_fma_f32 v76, v73, v7, -v49
	v_mul_f32_e32 v57, v7, v74
	v_lshlrev_b32_sdwa v7, v15, v8 dst_sel:DWORD dst_unused:UNUSED_PAD src0_sel:DWORD src1_sel:BYTE_0
	global_load_dwordx2 v[64:65], v7, s[4:5]
	v_lshlrev_b32_sdwa v7, v15, v8 dst_sel:DWORD dst_unused:UNUSED_PAD src0_sel:DWORD src1_sel:BYTE_1
	global_load_dwordx2 v[66:67], v7, s[4:5] offset:2048
	v_bfe_u32 v7, v8, 16, 8
	v_lshl_or_b32 v7, v7, 3, v20
	global_load_dwordx2 v[68:69], v7, s[4:5]
	v_or_b32_e32 v49, 16, v37
	v_fmac_f32_e32 v57, v73, v9
	v_mul_lo_u32 v9, v19, v49
	v_mul_f32_e32 v8, v41, v57
	v_mul_f32_e32 v7, v31, v57
	v_fma_f32 v8, v31, v76, -v8
	v_lshlrev_b32_sdwa v31, v15, v9 dst_sel:DWORD dst_unused:UNUSED_PAD src0_sel:DWORD src1_sel:BYTE_0
	v_lshlrev_b32_sdwa v57, v15, v9 dst_sel:DWORD dst_unused:UNUSED_PAD src0_sel:DWORD src1_sel:BYTE_1
	global_load_dwordx2 v[70:71], v31, s[4:5]
	global_load_dwordx2 v[72:73], v57, s[4:5] offset:2048
	v_bfe_u32 v9, v9, 16, 8
	v_lshl_or_b32 v9, v9, 3, v20
	global_load_dwordx2 v[74:75], v9, s[4:5]
	v_sub_f32_e32 v31, v23, v26
	v_sub_f32_e32 v57, v24, v22
	v_add_f32_e32 v31, v31, v57
	v_mov_b32_e32 v57, v43
	v_fmac_f32_e32 v57, 0x3f737871, v78
	v_fmac_f32_e32 v43, 0xbf737871, v78
	;; [unrolled: 1-line block ×6, first 2 shown]
	v_add_f32_e32 v31, v23, v24
	v_fmac_f32_e32 v28, -0.5, v31
	v_fmac_f32_e32 v7, v41, v76
	v_mov_b32_e32 v82, v28
	v_fmac_f32_e32 v82, 0xbf737871, v81
	v_fmac_f32_e32 v28, 0x3f737871, v81
	;; [unrolled: 1-line block ×4, first 2 shown]
	v_and_b32_e32 v81, 15, v33
	s_waitcnt vmcnt(7)
	v_mul_f32_e32 v9, v59, v61
	v_fma_f32 v9, v58, v60, -v9
	v_mul_f32_e32 v31, v58, v61
	v_fmac_f32_e32 v31, v59, v60
	s_waitcnt vmcnt(6)
	v_mul_f32_e32 v58, v9, v63
	v_mul_f32_e32 v41, v31, v63
	v_fmac_f32_e32 v58, v62, v31
	v_fma_f32 v41, v62, v9, -v41
	v_mul_f32_e32 v9, v11, v58
	v_fmac_f32_e32 v9, v10, v41
	v_mul_f32_e32 v10, v10, v58
	v_fma_f32 v10, v11, v41, -v10
	s_waitcnt vmcnt(4)
	v_mul_f32_e32 v11, v65, v67
	v_fma_f32 v11, v64, v66, -v11
	v_mul_f32_e32 v31, v64, v67
	v_fmac_f32_e32 v31, v65, v66
	s_waitcnt vmcnt(3)
	v_mul_f32_e32 v58, v11, v69
	v_mul_f32_e32 v41, v31, v69
	v_fmac_f32_e32 v58, v68, v31
	v_fma_f32 v41, v68, v11, -v41
	v_mul_f32_e32 v11, v13, v58
	v_fmac_f32_e32 v11, v12, v41
	v_mul_f32_e32 v12, v12, v58
	v_or_b32_e32 v31, 32, v37
	v_fma_f32 v12, v13, v41, -v12
	v_mul_lo_u32 v41, v19, v31
	s_waitcnt vmcnt(1)
	v_mul_f32_e32 v13, v71, v73
	v_mul_f32_e32 v68, v70, v73
	v_fma_f32 v13, v70, v72, -v13
	v_lshlrev_b32_sdwa v62, v15, v41 dst_sel:DWORD dst_unused:UNUSED_PAD src0_sel:DWORD src1_sel:BYTE_0
	v_lshlrev_b32_sdwa v63, v15, v41 dst_sel:DWORD dst_unused:UNUSED_PAD src0_sel:DWORD src1_sel:BYTE_1
	global_load_dwordx2 v[58:59], v62, s[4:5]
	global_load_dwordx2 v[60:61], v63, s[4:5] offset:2048
	v_bfe_u32 v41, v41, 16, 8
	v_lshl_or_b32 v41, v41, 3, v20
	global_load_dwordx2 v[62:63], v41, s[4:5]
	v_or_b32_e32 v41, 48, v37
	v_fmac_f32_e32 v68, v71, v72
	v_mul_lo_u32 v72, v19, v41
	s_waitcnt vmcnt(3)
	v_mul_f32_e32 v64, v68, v75
	v_fma_f32 v76, v74, v13, -v64
	v_mul_f32_e32 v69, v13, v75
	v_lshlrev_b32_sdwa v13, v15, v72 dst_sel:DWORD dst_unused:UNUSED_PAD src0_sel:DWORD src1_sel:BYTE_0
	v_or_b32_e32 v37, 64, v37
	v_lshlrev_b32_sdwa v70, v15, v72 dst_sel:DWORD dst_unused:UNUSED_PAD src0_sel:DWORD src1_sel:BYTE_1
	global_load_dwordx2 v[64:65], v13, s[4:5]
	global_load_dwordx2 v[66:67], v70, s[4:5] offset:2048
	v_fmac_f32_e32 v69, v74, v68
	v_mul_lo_u32 v74, v19, v37
	v_mul_f32_e32 v68, v44, v69
	v_mul_f32_e32 v13, v14, v69
	v_fma_f32 v14, v14, v76, -v68
	v_lshlrev_b32_sdwa v75, v15, v74 dst_sel:DWORD dst_unused:UNUSED_PAD src0_sel:DWORD src1_sel:BYTE_1
	v_lshlrev_b32_sdwa v73, v15, v74 dst_sel:DWORD dst_unused:UNUSED_PAD src0_sel:DWORD src1_sel:BYTE_0
	global_load_dwordx2 v[68:69], v75, s[4:5] offset:2048
	global_load_dwordx2 v[70:71], v73, s[4:5]
	v_add_f32_e32 v75, v77, v26
	v_sub_f32_e32 v26, v26, v23
	v_bfe_u32 v23, v72, 16, 8
	v_lshl_or_b32 v23, v23, 3, v20
	global_load_dwordx2 v[72:73], v23, s[4:5]
	v_add_f32_e32 v23, v75, v22
	v_add_f32_e32 v80, v23, v24
	v_sub_f32_e32 v24, v22, v24
	v_bfe_u32 v22, v74, 16, 8
	v_lshl_or_b32 v22, v22, 3, v20
	global_load_dwordx2 v[22:23], v22, s[4:5]
	v_fmac_f32_e32 v13, v44, v76
	v_add_f32_e32 v26, v26, v24
	v_fmac_f32_e32 v82, 0x3e9e377a, v26
	v_fmac_f32_e32 v28, 0x3e9e377a, v26
	s_waitcnt vmcnt(7)
	v_mul_f32_e32 v44, v58, v61
	v_mul_f32_e32 v24, v59, v61
	v_fmac_f32_e32 v44, v59, v60
	v_fma_f32 v24, v58, v60, -v24
	s_waitcnt vmcnt(6)
	v_mul_f32_e32 v58, v44, v63
	v_fma_f32 v58, v62, v24, -v58
	v_mul_f32_e32 v24, v24, v63
	v_fmac_f32_e32 v24, v62, v44
	v_mul_f32_e32 v44, v51, v24
	v_mul_f32_e32 v24, v45, v24
	v_fmac_f32_e32 v44, v45, v58
	v_fma_f32 v45, v51, v58, -v24
	v_and_b32_e32 v51, 15, v34
	v_mul_lo_u32 v62, v19, v51
	s_waitcnt vmcnt(4)
	v_mul_f32_e32 v74, v64, v67
	v_mul_f32_e32 v24, v65, v67
	v_fmac_f32_e32 v74, v65, v66
	v_lshlrev_b32_sdwa v63, v15, v62 dst_sel:DWORD dst_unused:UNUSED_PAD src0_sel:DWORD src1_sel:BYTE_0
	v_or_b32_e32 v65, 16, v51
	v_fma_f32 v24, v64, v66, -v24
	v_lshlrev_b32_sdwa v64, v15, v62 dst_sel:DWORD dst_unused:UNUSED_PAD src0_sel:DWORD src1_sel:BYTE_1
	global_load_dwordx2 v[58:59], v63, s[4:5]
	global_load_dwordx2 v[60:61], v64, s[4:5] offset:2048
	v_bfe_u32 v62, v62, 16, 8
	v_mul_lo_u32 v75, v19, v65
	v_lshl_or_b32 v62, v62, 3, v20
	global_load_dwordx2 v[62:63], v62, s[4:5]
	s_waitcnt vmcnt(5)
	v_mul_f32_e32 v64, v71, v69
	v_mul_f32_e32 v77, v70, v69
	v_fma_f32 v76, v70, v68, -v64
	v_fmac_f32_e32 v77, v71, v68
	v_lshlrev_b32_sdwa v68, v15, v75 dst_sel:DWORD dst_unused:UNUSED_PAD src0_sel:DWORD src1_sel:BYTE_0
	v_lshlrev_b32_sdwa v69, v15, v75 dst_sel:DWORD dst_unused:UNUSED_PAD src0_sel:DWORD src1_sel:BYTE_1
	global_load_dwordx2 v[64:65], v68, s[4:5]
	global_load_dwordx2 v[66:67], v69, s[4:5] offset:2048
	v_bfe_u32 v68, v75, 16, 8
	v_lshl_or_b32 v68, v68, 3, v20
	global_load_dwordx2 v[68:69], v68, s[4:5]
	s_waitcnt vmcnt(7)
	v_mul_f32_e32 v70, v74, v73
	v_fma_f32 v75, v72, v24, -v70
	v_mul_f32_e32 v24, v24, v73
	v_fmac_f32_e32 v24, v72, v74
	v_mul_f32_e32 v70, v30, v24
	v_mul_f32_e32 v24, v40, v24
	v_fma_f32 v71, v30, v75, -v24
	v_or_b32_e32 v30, 32, v51
	v_mul_lo_u32 v30, v19, v30
	s_waitcnt vmcnt(6)
	v_mul_f32_e32 v24, v77, v23
	v_fma_f32 v78, v22, v76, -v24
	v_mul_f32_e32 v74, v76, v23
	v_lshlrev_b32_sdwa v24, v15, v30 dst_sel:DWORD dst_unused:UNUSED_PAD src0_sel:DWORD src1_sel:BYTE_0
	v_fmac_f32_e32 v74, v22, v77
	v_lshlrev_b32_sdwa v76, v15, v30 dst_sel:DWORD dst_unused:UNUSED_PAD src0_sel:DWORD src1_sel:BYTE_1
	global_load_dwordx2 v[22:23], v24, s[4:5]
	global_load_dwordx2 v[72:73], v76, s[4:5] offset:2048
	v_bfe_u32 v30, v30, 16, 8
	v_mul_f32_e32 v24, v25, v74
	v_lshl_or_b32 v30, v30, 3, v20
	v_fmac_f32_e32 v70, v40, v75
	v_fmac_f32_e32 v24, v21, v78
	v_mul_f32_e32 v21, v21, v74
	global_load_dwordx2 v[74:75], v30, s[4:5]
	v_fma_f32 v25, v25, v78, -v21
	s_waitcnt vmcnt(7)
	v_mul_f32_e32 v30, v58, v61
	v_mul_f32_e32 v21, v59, v61
	v_fmac_f32_e32 v30, v59, v60
	v_fma_f32 v21, v58, v60, -v21
	s_waitcnt vmcnt(6)
	v_mul_f32_e32 v40, v30, v63
	v_fma_f32 v40, v62, v21, -v40
	v_mul_f32_e32 v21, v21, v63
	v_fmac_f32_e32 v21, v62, v30
	v_mul_f32_e32 v58, v56, v21
	v_mul_f32_e32 v21, v54, v21
	v_fma_f32 v59, v56, v40, -v21
	s_waitcnt vmcnt(4)
	v_mul_f32_e32 v30, v64, v67
	v_mul_f32_e32 v21, v65, v67
	v_fmac_f32_e32 v30, v65, v66
	v_fmac_f32_e32 v58, v54, v40
	v_fma_f32 v21, v64, v66, -v21
	s_waitcnt vmcnt(3)
	v_mul_f32_e32 v40, v30, v69
	v_fma_f32 v40, v68, v21, -v40
	v_mul_f32_e32 v21, v21, v69
	v_fmac_f32_e32 v21, v68, v30
	v_or_b32_e32 v30, 48, v51
	v_mul_lo_u32 v30, v19, v30
	v_mul_f32_e32 v54, v55, v21
	v_mul_f32_e32 v21, v48, v21
	v_fma_f32 v55, v55, v40, -v21
	v_lshlrev_b32_sdwa v21, v15, v30 dst_sel:DWORD dst_unused:UNUSED_PAD src0_sel:DWORD src1_sel:BYTE_0
	global_load_dwordx2 v[60:61], v21, s[4:5]
	v_lshlrev_b32_sdwa v21, v15, v30 dst_sel:DWORD dst_unused:UNUSED_PAD src0_sel:DWORD src1_sel:BYTE_1
	global_load_dwordx2 v[62:63], v21, s[4:5] offset:2048
	v_bfe_u32 v21, v30, 16, 8
	v_or_b32_e32 v30, 64, v51
	v_lshl_or_b32 v21, v21, 3, v20
	v_mul_lo_u32 v30, v19, v30
	global_load_dwordx2 v[64:65], v21, s[4:5]
	s_waitcnt vmcnt(4)
	v_mul_f32_e32 v21, v23, v73
	v_fma_f32 v51, v22, v72, -v21
	v_lshlrev_b32_sdwa v68, v15, v30 dst_sel:DWORD dst_unused:UNUSED_PAD src0_sel:DWORD src1_sel:BYTE_0
	v_mul_f32_e32 v56, v22, v73
	v_lshlrev_b32_sdwa v69, v15, v30 dst_sel:DWORD dst_unused:UNUSED_PAD src0_sel:DWORD src1_sel:BYTE_1
	global_load_dwordx2 v[21:22], v68, s[4:5]
	global_load_dwordx2 v[66:67], v69, s[4:5] offset:2048
	v_fmac_f32_e32 v56, v23, v72
	v_bfe_u32 v23, v30, 16, 8
	v_lshl_or_b32 v23, v23, 3, v20
	global_load_dwordx2 v[68:69], v23, s[4:5]
	v_mul_lo_u32 v30, v19, v81
	s_waitcnt vmcnt(6)
	v_mul_f32_e32 v23, v56, v75
	v_fma_f32 v23, v74, v51, -v23
	v_mul_f32_e32 v51, v51, v75
	v_fmac_f32_e32 v51, v74, v56
	v_lshlrev_b32_sdwa v56, v15, v30 dst_sel:DWORD dst_unused:UNUSED_PAD src0_sel:DWORD src1_sel:BYTE_0
	v_lshlrev_b32_sdwa v76, v15, v30 dst_sel:DWORD dst_unused:UNUSED_PAD src0_sel:DWORD src1_sel:BYTE_1
	global_load_dwordx2 v[72:73], v56, s[4:5]
	global_load_dwordx2 v[74:75], v76, s[4:5] offset:2048
	v_bfe_u32 v26, v30, 16, 8
	v_lshl_or_b32 v26, v26, 3, v20
	global_load_dwordx2 v[76:77], v26, s[4:5]
	v_mul_f32_e32 v26, v50, v51
	v_mul_f32_e32 v78, v53, v51
	v_fma_f32 v79, v53, v23, -v26
	v_fmac_f32_e32 v78, v50, v23
	v_fmac_f32_e32 v54, v48, v40
	s_waitcnt vmcnt(7)
	v_mul_f32_e32 v26, v60, v63
	v_mul_f32_e32 v23, v61, v63
	v_fmac_f32_e32 v26, v61, v62
	v_fma_f32 v23, v60, v62, -v23
	s_waitcnt vmcnt(6)
	v_mul_f32_e32 v30, v26, v65
	v_fma_f32 v30, v64, v23, -v30
	v_mul_f32_e32 v23, v23, v65
	v_fmac_f32_e32 v23, v64, v26
	v_mul_f32_e32 v50, v29, v23
	v_mul_f32_e32 v23, v39, v23
	v_fma_f32 v51, v29, v30, -v23
	s_waitcnt vmcnt(4)
	v_mul_f32_e32 v23, v22, v67
	v_fma_f32 v23, v21, v66, -v23
	v_mul_f32_e32 v21, v21, v67
	v_fmac_f32_e32 v21, v22, v66
	v_or_b32_e32 v26, 16, v81
	s_waitcnt vmcnt(3)
	v_mul_f32_e32 v22, v21, v69
	v_mul_lo_u32 v26, v19, v26
	v_fma_f32 v22, v68, v23, -v22
	v_mul_f32_e32 v23, v23, v69
	v_fmac_f32_e32 v23, v68, v21
	v_mul_f32_e32 v21, v47, v23
	v_mul_f32_e32 v23, v42, v23
	v_fmac_f32_e32 v21, v42, v22
	v_fma_f32 v22, v47, v22, -v23
	v_lshlrev_b32_sdwa v42, v15, v26 dst_sel:DWORD dst_unused:UNUSED_PAD src0_sel:DWORD src1_sel:BYTE_0
	v_lshlrev_b32_sdwa v47, v15, v26 dst_sel:DWORD dst_unused:UNUSED_PAD src0_sel:DWORD src1_sel:BYTE_1
	v_bfe_u32 v26, v26, 16, 8
	v_fmac_f32_e32 v50, v39, v30
	global_load_dwordx2 v[29:30], v42, s[4:5]
	global_load_dwordx2 v[39:40], v47, s[4:5] offset:2048
	v_lshl_or_b32 v26, v26, 3, v20
	v_or_b32_e32 v42, 32, v81
	global_load_dwordx2 v[47:48], v26, s[4:5]
	v_mul_lo_u32 v26, v19, v42
	s_waitcnt vmcnt(4)
	v_mul_f32_e32 v42, v72, v75
	v_mul_f32_e32 v23, v73, v75
	v_fmac_f32_e32 v42, v73, v74
	v_lshlrev_b32_sdwa v56, v15, v26 dst_sel:DWORD dst_unused:UNUSED_PAD src0_sel:DWORD src1_sel:BYTE_0
	global_load_dwordx2 v[60:61], v56, s[4:5]
	v_lshlrev_b32_sdwa v56, v15, v26 dst_sel:DWORD dst_unused:UNUSED_PAD src0_sel:DWORD src1_sel:BYTE_1
	v_bfe_u32 v26, v26, 16, 8
	v_lshl_or_b32 v26, v26, 3, v20
	global_load_dwordx2 v[62:63], v56, s[4:5] offset:2048
	global_load_dwordx2 v[64:65], v26, s[4:5]
	v_or_b32_e32 v56, 48, v81
	v_mul_lo_u32 v26, v19, v56
	v_fma_f32 v23, v72, v74, -v23
	s_waitcnt vmcnt(6)
	v_mul_f32_e32 v53, v42, v77
	v_fma_f32 v56, v76, v23, -v53
	v_mul_f32_e32 v23, v23, v77
	v_fmac_f32_e32 v23, v76, v42
	v_lshlrev_b32_sdwa v42, v15, v26 dst_sel:DWORD dst_unused:UNUSED_PAD src0_sel:DWORD src1_sel:BYTE_0
	v_lshlrev_b32_sdwa v53, v15, v26 dst_sel:DWORD dst_unused:UNUSED_PAD src0_sel:DWORD src1_sel:BYTE_1
	v_bfe_u32 v26, v26, 16, 8
	global_load_dwordx2 v[66:67], v42, s[4:5]
	global_load_dwordx2 v[68:69], v53, s[4:5] offset:2048
	v_lshl_or_b32 v26, v26, 3, v20
	v_or_b32_e32 v42, 64, v81
	global_load_dwordx2 v[72:73], v26, s[4:5]
	v_mul_lo_u32 v26, v19, v42
	v_mul_f32_e32 v19, v80, v23
	v_fmac_f32_e32 v19, v52, v56
	v_mul_f32_e32 v23, v52, v23
	v_lshlrev_b32_sdwa v42, v15, v26 dst_sel:DWORD dst_unused:UNUSED_PAD src0_sel:DWORD src1_sel:BYTE_0
	v_lshlrev_b32_sdwa v15, v15, v26 dst_sel:DWORD dst_unused:UNUSED_PAD src0_sel:DWORD src1_sel:BYTE_1
	global_load_dwordx2 v[52:53], v42, s[4:5]
	global_load_dwordx2 v[74:75], v15, s[4:5] offset:2048
	v_bfe_u32 v15, v26, 16, 8
	v_lshl_or_b32 v15, v15, 3, v20
	global_load_dwordx2 v[76:77], v15, s[4:5]
	v_fma_f32 v20, v80, v56, -v23
	s_movk_i32 s4, 0x25f
	v_cmp_lt_u32_e64 s[4:5], s4, v0
	s_waitcnt vmcnt(10)
	v_mul_f32_e32 v23, v29, v40
	v_mul_f32_e32 v15, v30, v40
	v_fmac_f32_e32 v23, v30, v39
	v_fma_f32 v15, v29, v39, -v15
	s_waitcnt vmcnt(9)
	v_mul_f32_e32 v26, v23, v48
	v_fma_f32 v29, v47, v15, -v26
	v_mul_f32_e32 v15, v15, v48
	v_fmac_f32_e32 v15, v47, v23
	v_mul_f32_e32 v26, v57, v15
	v_mul_f32_e32 v15, v27, v15
	v_fmac_f32_e32 v26, v27, v29
	v_fma_f32 v27, v57, v29, -v15
	s_waitcnt vmcnt(7)
	v_mul_f32_e32 v23, v60, v63
	v_mul_f32_e32 v15, v61, v63
	v_fmac_f32_e32 v23, v61, v62
	v_fma_f32 v15, v60, v62, -v15
	s_waitcnt vmcnt(6)
	v_mul_f32_e32 v29, v23, v65
	v_fma_f32 v30, v64, v15, -v29
	v_mul_f32_e32 v15, v15, v65
	v_fmac_f32_e32 v15, v64, v23
	v_mul_f32_e32 v29, v82, v15
	v_mul_f32_e32 v15, v46, v15
	v_fmac_f32_e32 v29, v46, v30
	v_fma_f32 v30, v82, v30, -v15
	;; [unrolled: 14-line block ×3, first 2 shown]
	s_waitcnt vmcnt(1)
	v_mul_f32_e32 v15, v53, v75
	v_fma_f32 v15, v52, v74, -v15
	v_mul_f32_e32 v23, v52, v75
	v_fmac_f32_e32 v23, v53, v74
	s_waitcnt vmcnt(0)
	v_mul_f32_e32 v38, v15, v77
	v_mul_f32_e32 v28, v23, v77
	v_fmac_f32_e32 v38, v76, v23
	v_mov_b32_e32 v23, 0x50
	v_cndmask_b32_e64 v23, 0, v23, s[4:5]
	v_or_b32_e32 v23, v32, v23
	v_mul_lo_u32 v32, s12, v23
	v_fma_f32 v28, v76, v15, -v28
	v_mul_f32_e32 v15, v43, v38
	v_fmac_f32_e32 v15, v16, v28
	v_mul_f32_e32 v16, v16, v38
	v_fma_f32 v16, v43, v28, -v16
	v_add_lshl_u32 v28, v17, v32, 3
	v_cndmask_b32_e64 v28, -1, v28, s[2:3]
	v_add_u32_e32 v32, 16, v23
	buffer_store_dwordx2 v[1:2], v28, s[8:11], s13 offen
	v_or_b32_e32 v1, 32, v23
	v_mul_lo_u32 v32, s12, v32
	v_mul_lo_u32 v1, s12, v1
	v_cmp_gt_u32_e64 s[4:5], 38, v0
	v_add_lshl_u32 v2, v17, v32, 3
	v_add_lshl_u32 v1, v17, v1, 3
	v_cndmask_b32_e64 v2, -1, v2, s[2:3]
	v_cndmask_b32_e64 v1, -1, v1, s[2:3]
	buffer_store_dwordx2 v[3:4], v2, s[8:11], s13 offen
	v_add_u32_e32 v2, 48, v23
	buffer_store_dwordx2 v[5:6], v1, s[8:11], s13 offen
	v_add_u32_e32 v1, 64, v23
	v_mul_lo_u32 v2, s12, v2
	v_mul_lo_u32 v1, s12, v1
	v_add_lshl_u32 v2, v17, v2, 3
	v_add_lshl_u32 v1, v17, v1, 3
	v_cndmask_b32_e64 v2, -1, v2, s[2:3]
	v_cndmask_b32_e64 v1, -1, v1, s[2:3]
	buffer_store_dwordx2 v[7:8], v2, s[8:11], s13 offen
	buffer_store_dwordx2 v[9:10], v1, s[8:11], s13 offen
	v_mul_lo_u32 v1, s12, v49
	v_add_lshl_u32 v2, v17, v18, 3
	v_cndmask_b32_e64 v2, -1, v2, s[2:3]
	buffer_store_dwordx2 v[11:12], v2, s[8:11], s13 offen
	v_add_lshl_u32 v1, v17, v1, 3
	v_mul_lo_u32 v2, s12, v31
	v_cndmask_b32_e64 v1, -1, v1, s[2:3]
	buffer_store_dwordx2 v[13:14], v1, s[8:11], s13 offen
	v_mul_lo_u32 v1, s12, v41
	v_add_lshl_u32 v2, v17, v2, 3
	v_cndmask_b32_e64 v2, -1, v2, s[2:3]
	buffer_store_dwordx2 v[44:45], v2, s[8:11], s13 offen
	v_add_lshl_u32 v1, v17, v1, 3
	v_cndmask_b32_e64 v1, -1, v1, s[2:3]
	v_mul_lo_u32 v2, s12, v37
	buffer_store_dwordx2 v[70:71], v1, s[8:11], s13 offen
	v_and_or_b32 v1, v36, 64, v34
	v_mul_lo_u32 v3, s12, v1
	v_add_lshl_u32 v2, v17, v2, 3
	v_cndmask_b32_e64 v2, -1, v2, s[2:3]
	buffer_store_dwordx2 v[24:25], v2, s[8:11], s13 offen
	v_add_lshl_u32 v2, v17, v3, 3
	v_add_u32_e32 v3, 16, v1
	v_mul_lo_u32 v3, s12, v3
	v_cndmask_b32_e64 v2, -1, v2, s[2:3]
	buffer_store_dwordx2 v[58:59], v2, s[8:11], s13 offen
	v_or_b32_e32 v2, 32, v1
	v_add_lshl_u32 v3, v17, v3, 3
	v_mul_lo_u32 v2, s12, v2
	v_cndmask_b32_e64 v3, -1, v3, s[2:3]
	buffer_store_dwordx2 v[54:55], v3, s[8:11], s13 offen
	v_add_u32_e32 v3, 48, v1
	v_add_u32_e32 v1, 64, v1
	v_mul_lo_u32 v3, s12, v3
	v_mul_lo_u32 v1, s12, v1
	v_add_lshl_u32 v2, v17, v2, 3
	v_cndmask_b32_e64 v2, -1, v2, s[2:3]
	buffer_store_dwordx2 v[78:79], v2, s[8:11], s13 offen
	v_add_lshl_u32 v2, v17, v3, 3
	v_add_lshl_u32 v1, v17, v1, 3
	v_cndmask_b32_e64 v2, -1, v2, s[2:3]
	v_cndmask_b32_e64 v1, -1, v1, s[2:3]
	buffer_store_dwordx2 v[50:51], v2, s[8:11], s13 offen
	buffer_store_dwordx2 v[21:22], v1, s[8:11], s13 offen
	v_and_or_b32 v1, v35, 64, v33
	v_mul_lo_u32 v2, s12, v1
	v_cmp_lt_u32_e64 s[2:3], 37, v0
	v_cndmask_b32_e64 v0, 0, 1, s[4:5]
	v_cndmask_b32_e64 v3, 0, 1, s[0:1]
	s_or_b64 vcc, s[2:3], vcc
	v_cndmask_b32_e32 v0, v3, v0, vcc
	v_and_b32_e32 v0, 1, v0
	v_add_lshl_u32 v2, v17, v2, 3
	v_cmp_eq_u32_e32 vcc, 1, v0
	v_cndmask_b32_e32 v0, -1, v2, vcc
	v_add_u32_e32 v2, 16, v1
	buffer_store_dwordx2 v[19:20], v0, s[8:11], s13 offen
	v_or_b32_e32 v0, 32, v1
	v_mul_lo_u32 v2, s12, v2
	v_mul_lo_u32 v0, s12, v0
	v_add_lshl_u32 v2, v17, v2, 3
	v_add_lshl_u32 v0, v17, v0, 3
	v_cndmask_b32_e32 v2, -1, v2, vcc
	v_cndmask_b32_e32 v0, -1, v0, vcc
	buffer_store_dwordx2 v[26:27], v2, s[8:11], s13 offen
	v_add_u32_e32 v2, 48, v1
	buffer_store_dwordx2 v[29:30], v0, s[8:11], s13 offen
	v_add_u32_e32 v0, 64, v1
	v_mul_lo_u32 v2, s12, v2
	v_mul_lo_u32 v0, s12, v0
	v_add_lshl_u32 v1, v17, v2, 3
	v_add_lshl_u32 v0, v17, v0, 3
	v_cndmask_b32_e32 v1, -1, v1, vcc
	v_cndmask_b32_e32 v0, -1, v0, vcc
	buffer_store_dwordx2 v[39:40], v1, s[8:11], s13 offen
	buffer_store_dwordx2 v[15:16], v0, s[8:11], s13 offen
	s_endpgm
	.section	.rodata,"a",@progbits
	.p2align	6, 0x0
	.amdhsa_kernel fft_rtc_back_len80_factors_4_4_5_wgs_190_tpt_5_halfLds_dim2_sp_ip_CI_sbcc_twdbase8_3step_dirReg_intrinsicReadWrite
		.amdhsa_group_segment_fixed_size 0
		.amdhsa_private_segment_fixed_size 0
		.amdhsa_kernarg_size 88
		.amdhsa_user_sgpr_count 6
		.amdhsa_user_sgpr_private_segment_buffer 1
		.amdhsa_user_sgpr_dispatch_ptr 0
		.amdhsa_user_sgpr_queue_ptr 0
		.amdhsa_user_sgpr_kernarg_segment_ptr 1
		.amdhsa_user_sgpr_dispatch_id 0
		.amdhsa_user_sgpr_flat_scratch_init 0
		.amdhsa_user_sgpr_private_segment_size 0
		.amdhsa_uses_dynamic_stack 0
		.amdhsa_system_sgpr_private_segment_wavefront_offset 0
		.amdhsa_system_sgpr_workgroup_id_x 1
		.amdhsa_system_sgpr_workgroup_id_y 0
		.amdhsa_system_sgpr_workgroup_id_z 0
		.amdhsa_system_sgpr_workgroup_info 0
		.amdhsa_system_vgpr_workitem_id 0
		.amdhsa_next_free_vgpr 83
		.amdhsa_next_free_sgpr 23
		.amdhsa_reserve_vcc 1
		.amdhsa_reserve_flat_scratch 0
		.amdhsa_float_round_mode_32 0
		.amdhsa_float_round_mode_16_64 0
		.amdhsa_float_denorm_mode_32 3
		.amdhsa_float_denorm_mode_16_64 3
		.amdhsa_dx10_clamp 1
		.amdhsa_ieee_mode 1
		.amdhsa_fp16_overflow 0
		.amdhsa_exception_fp_ieee_invalid_op 0
		.amdhsa_exception_fp_denorm_src 0
		.amdhsa_exception_fp_ieee_div_zero 0
		.amdhsa_exception_fp_ieee_overflow 0
		.amdhsa_exception_fp_ieee_underflow 0
		.amdhsa_exception_fp_ieee_inexact 0
		.amdhsa_exception_int_div_zero 0
	.end_amdhsa_kernel
	.text
.Lfunc_end0:
	.size	fft_rtc_back_len80_factors_4_4_5_wgs_190_tpt_5_halfLds_dim2_sp_ip_CI_sbcc_twdbase8_3step_dirReg_intrinsicReadWrite, .Lfunc_end0-fft_rtc_back_len80_factors_4_4_5_wgs_190_tpt_5_halfLds_dim2_sp_ip_CI_sbcc_twdbase8_3step_dirReg_intrinsicReadWrite
                                        ; -- End function
	.section	.AMDGPU.csdata,"",@progbits
; Kernel info:
; codeLenInByte = 8852
; NumSgprs: 27
; NumVgprs: 83
; ScratchSize: 0
; MemoryBound: 0
; FloatMode: 240
; IeeeMode: 1
; LDSByteSize: 0 bytes/workgroup (compile time only)
; SGPRBlocks: 3
; VGPRBlocks: 20
; NumSGPRsForWavesPerEU: 27
; NumVGPRsForWavesPerEU: 83
; Occupancy: 3
; WaveLimiterHint : 0
; COMPUTE_PGM_RSRC2:SCRATCH_EN: 0
; COMPUTE_PGM_RSRC2:USER_SGPR: 6
; COMPUTE_PGM_RSRC2:TRAP_HANDLER: 0
; COMPUTE_PGM_RSRC2:TGID_X_EN: 1
; COMPUTE_PGM_RSRC2:TGID_Y_EN: 0
; COMPUTE_PGM_RSRC2:TGID_Z_EN: 0
; COMPUTE_PGM_RSRC2:TIDIG_COMP_CNT: 0
	.type	__hip_cuid_3fb5c60474286da0,@object ; @__hip_cuid_3fb5c60474286da0
	.section	.bss,"aw",@nobits
	.globl	__hip_cuid_3fb5c60474286da0
__hip_cuid_3fb5c60474286da0:
	.byte	0                               ; 0x0
	.size	__hip_cuid_3fb5c60474286da0, 1

	.ident	"AMD clang version 19.0.0git (https://github.com/RadeonOpenCompute/llvm-project roc-6.4.0 25133 c7fe45cf4b819c5991fe208aaa96edf142730f1d)"
	.section	".note.GNU-stack","",@progbits
	.addrsig
	.addrsig_sym __hip_cuid_3fb5c60474286da0
	.amdgpu_metadata
---
amdhsa.kernels:
  - .args:
      - .actual_access:  read_only
        .address_space:  global
        .offset:         0
        .size:           8
        .value_kind:     global_buffer
      - .address_space:  global
        .offset:         8
        .size:           8
        .value_kind:     global_buffer
      - .actual_access:  read_only
        .address_space:  global
        .offset:         16
        .size:           8
        .value_kind:     global_buffer
      - .actual_access:  read_only
        .address_space:  global
        .offset:         24
        .size:           8
        .value_kind:     global_buffer
      - .offset:         32
        .size:           8
        .value_kind:     by_value
      - .actual_access:  read_only
        .address_space:  global
        .offset:         40
        .size:           8
        .value_kind:     global_buffer
      - .actual_access:  read_only
        .address_space:  global
        .offset:         48
        .size:           8
        .value_kind:     global_buffer
      - .offset:         56
        .size:           4
        .value_kind:     by_value
      - .actual_access:  read_only
        .address_space:  global
        .offset:         64
        .size:           8
        .value_kind:     global_buffer
      - .actual_access:  read_only
        .address_space:  global
        .offset:         72
        .size:           8
        .value_kind:     global_buffer
      - .address_space:  global
        .offset:         80
        .size:           8
        .value_kind:     global_buffer
    .group_segment_fixed_size: 0
    .kernarg_segment_align: 8
    .kernarg_segment_size: 88
    .language:       OpenCL C
    .language_version:
      - 2
      - 0
    .max_flat_workgroup_size: 190
    .name:           fft_rtc_back_len80_factors_4_4_5_wgs_190_tpt_5_halfLds_dim2_sp_ip_CI_sbcc_twdbase8_3step_dirReg_intrinsicReadWrite
    .private_segment_fixed_size: 0
    .sgpr_count:     27
    .sgpr_spill_count: 0
    .symbol:         fft_rtc_back_len80_factors_4_4_5_wgs_190_tpt_5_halfLds_dim2_sp_ip_CI_sbcc_twdbase8_3step_dirReg_intrinsicReadWrite.kd
    .uniform_work_group_size: 1
    .uses_dynamic_stack: false
    .vgpr_count:     83
    .vgpr_spill_count: 0
    .wavefront_size: 64
amdhsa.target:   amdgcn-amd-amdhsa--gfx906
amdhsa.version:
  - 1
  - 2
...

	.end_amdgpu_metadata
